;; amdgpu-corpus repo=ROCm/vllm kind=compiled arch=gfx906 opt=O3
	.amdgcn_target "amdgcn-amd-amdhsa--gfx906"
	.amdhsa_code_object_version 6
	.text
	.protected	_Z19permute_cols_kernelPK15HIP_vector_typeIiLj4EEPKiPS0_iii ; -- Begin function _Z19permute_cols_kernelPK15HIP_vector_typeIiLj4EEPKiPS0_iii
	.globl	_Z19permute_cols_kernelPK15HIP_vector_typeIiLj4EEPKiPS0_iii
	.p2align	8
	.type	_Z19permute_cols_kernelPK15HIP_vector_typeIiLj4EEPKiPS0_iii,@function
_Z19permute_cols_kernelPK15HIP_vector_typeIiLj4EEPKiPS0_iii: ; @_Z19permute_cols_kernelPK15HIP_vector_typeIiLj4EEPKiPS0_iii
; %bb.0:
	s_load_dwordx4 s[0:3], s[4:5], 0x18
	s_waitcnt lgkmcnt(0)
	s_mul_i32 s12, s2, s6
	s_add_i32 s2, s12, s2
	s_min_i32 s0, s2, s0
	s_sub_i32 s13, s0, s12
	s_cmp_lt_i32 s13, 1
	s_cbranch_scc1 .LBB0_8
; %bb.1:
	s_ashr_i32 s0, s1, 31
	s_lshr_b32 s0, s0, 24
	s_add_i32 s0, s1, s0
	s_ashr_i32 s15, s0, 8
	s_and_b32 s0, s0, 0xffffff00
	s_load_dwordx4 s[8:11], s[4:5], 0x0
	s_load_dwordx2 s[6:7], s[4:5], 0x10
	s_ashr_i32 s14, s1, 3
	s_sub_i32 s0, s1, s0
	s_cmpk_gt_i32 s1, 0xff
	s_cselect_b64 s[2:3], -1, 0
	v_cndmask_b32_e64 v1, 0, 1, s[2:3]
	v_cmp_gt_u32_e64 s[0:1], s0, v0
	s_mov_b32 s16, 0
	v_cmp_ne_u32_e64 s[2:3], 1, v1
	s_branch .LBB0_3
.LBB0_2:                                ;   in Loop: Header=BB0_3 Depth=1
	s_or_b64 exec, exec, s[4:5]
	s_add_i32 s16, s16, 1
	s_cmp_le_i32 s13, s16
	s_cbranch_scc1 .LBB0_8
.LBB0_3:                                ; =>This Loop Header: Depth=1
                                        ;     Child Loop BB0_5 Depth 2
	s_add_i32 s4, s16, s12
	s_mul_i32 s4, s4, s14
	s_ashr_i32 s5, s4, 31
	s_lshl_b64 s[4:5], s[4:5], 4
	s_waitcnt lgkmcnt(0)
	s_add_u32 s19, s8, s4
	s_addc_u32 s20, s9, s5
	s_add_u32 s17, s6, s4
	s_addc_u32 s18, s7, s5
	s_and_b64 vcc, exec, s[2:3]
	s_mov_b32 s21, 0
	s_cbranch_vccnz .LBB0_6
; %bb.4:                                ;   in Loop: Header=BB0_3 Depth=1
	s_mov_b32 s4, s15
.LBB0_5:                                ;   Parent Loop BB0_3 Depth=1
                                        ; =>  This Inner Loop Header: Depth=2
	v_add_u32_e32 v1, s21, v0
	v_ashrrev_i32_e32 v2, 31, v1
	v_lshlrev_b64 v[3:4], 2, v[1:2]
	v_mov_b32_e32 v5, s11
	v_add_co_u32_e32 v3, vcc, s10, v3
	v_addc_co_u32_e32 v4, vcc, v5, v4, vcc
	global_load_dword v3, v[3:4], off
	v_mov_b32_e32 v5, s20
	v_lshlrev_b64 v[1:2], 1, v[1:2]
	s_addk_i32 s21, 0x100
	s_add_i32 s4, s4, -1
	s_cmp_eq_u32 s4, 0
	s_waitcnt vmcnt(0)
	v_ashrrev_i32_e32 v4, 31, v3
	v_lshlrev_b64 v[3:4], 1, v[3:4]
	v_add_co_u32_e32 v3, vcc, s19, v3
	v_addc_co_u32_e32 v4, vcc, v5, v4, vcc
	global_load_ushort v3, v[3:4], off
	v_mov_b32_e32 v4, s18
	v_add_co_u32_e32 v1, vcc, s17, v1
	v_addc_co_u32_e32 v2, vcc, v4, v2, vcc
	s_waitcnt vmcnt(0)
	global_store_short v[1:2], v3, off
	s_cbranch_scc0 .LBB0_5
.LBB0_6:                                ;   in Loop: Header=BB0_3 Depth=1
	s_and_saveexec_b64 s[4:5], s[0:1]
	s_cbranch_execz .LBB0_2
; %bb.7:                                ;   in Loop: Header=BB0_3 Depth=1
	v_add_u32_e32 v1, s21, v0
	v_ashrrev_i32_e32 v2, 31, v1
	v_lshlrev_b64 v[3:4], 2, v[1:2]
	v_mov_b32_e32 v5, s11
	v_add_co_u32_e32 v3, vcc, s10, v3
	v_addc_co_u32_e32 v4, vcc, v5, v4, vcc
	global_load_dword v3, v[3:4], off
	v_mov_b32_e32 v5, s20
	v_lshlrev_b64 v[1:2], 1, v[1:2]
	s_waitcnt vmcnt(0)
	v_ashrrev_i32_e32 v4, 31, v3
	v_lshlrev_b64 v[3:4], 1, v[3:4]
	v_add_co_u32_e32 v3, vcc, s19, v3
	v_addc_co_u32_e32 v4, vcc, v5, v4, vcc
	global_load_ushort v3, v[3:4], off
	v_mov_b32_e32 v4, s18
	v_add_co_u32_e32 v1, vcc, s17, v1
	v_addc_co_u32_e32 v2, vcc, v4, v2, vcc
	s_waitcnt vmcnt(0)
	global_store_short v[1:2], v3, off
	s_branch .LBB0_2
.LBB0_8:
	s_endpgm
	.section	.rodata,"a",@progbits
	.p2align	6, 0x0
	.amdhsa_kernel _Z19permute_cols_kernelPK15HIP_vector_typeIiLj4EEPKiPS0_iii
		.amdhsa_group_segment_fixed_size 0
		.amdhsa_private_segment_fixed_size 0
		.amdhsa_kernarg_size 36
		.amdhsa_user_sgpr_count 6
		.amdhsa_user_sgpr_private_segment_buffer 1
		.amdhsa_user_sgpr_dispatch_ptr 0
		.amdhsa_user_sgpr_queue_ptr 0
		.amdhsa_user_sgpr_kernarg_segment_ptr 1
		.amdhsa_user_sgpr_dispatch_id 0
		.amdhsa_user_sgpr_flat_scratch_init 0
		.amdhsa_user_sgpr_private_segment_size 0
		.amdhsa_uses_dynamic_stack 0
		.amdhsa_system_sgpr_private_segment_wavefront_offset 0
		.amdhsa_system_sgpr_workgroup_id_x 1
		.amdhsa_system_sgpr_workgroup_id_y 0
		.amdhsa_system_sgpr_workgroup_id_z 0
		.amdhsa_system_sgpr_workgroup_info 0
		.amdhsa_system_vgpr_workitem_id 0
		.amdhsa_next_free_vgpr 6
		.amdhsa_next_free_sgpr 22
		.amdhsa_reserve_vcc 1
		.amdhsa_reserve_flat_scratch 0
		.amdhsa_float_round_mode_32 0
		.amdhsa_float_round_mode_16_64 0
		.amdhsa_float_denorm_mode_32 3
		.amdhsa_float_denorm_mode_16_64 3
		.amdhsa_dx10_clamp 1
		.amdhsa_ieee_mode 1
		.amdhsa_fp16_overflow 0
		.amdhsa_exception_fp_ieee_invalid_op 0
		.amdhsa_exception_fp_denorm_src 0
		.amdhsa_exception_fp_ieee_div_zero 0
		.amdhsa_exception_fp_ieee_overflow 0
		.amdhsa_exception_fp_ieee_underflow 0
		.amdhsa_exception_fp_ieee_inexact 0
		.amdhsa_exception_int_div_zero 0
	.end_amdhsa_kernel
	.text
.Lfunc_end0:
	.size	_Z19permute_cols_kernelPK15HIP_vector_typeIiLj4EEPKiPS0_iii, .Lfunc_end0-_Z19permute_cols_kernelPK15HIP_vector_typeIiLj4EEPKiPS0_iii
                                        ; -- End function
	.set _Z19permute_cols_kernelPK15HIP_vector_typeIiLj4EEPKiPS0_iii.num_vgpr, 6
	.set _Z19permute_cols_kernelPK15HIP_vector_typeIiLj4EEPKiPS0_iii.num_agpr, 0
	.set _Z19permute_cols_kernelPK15HIP_vector_typeIiLj4EEPKiPS0_iii.numbered_sgpr, 22
	.set _Z19permute_cols_kernelPK15HIP_vector_typeIiLj4EEPKiPS0_iii.num_named_barrier, 0
	.set _Z19permute_cols_kernelPK15HIP_vector_typeIiLj4EEPKiPS0_iii.private_seg_size, 0
	.set _Z19permute_cols_kernelPK15HIP_vector_typeIiLj4EEPKiPS0_iii.uses_vcc, 1
	.set _Z19permute_cols_kernelPK15HIP_vector_typeIiLj4EEPKiPS0_iii.uses_flat_scratch, 0
	.set _Z19permute_cols_kernelPK15HIP_vector_typeIiLj4EEPKiPS0_iii.has_dyn_sized_stack, 0
	.set _Z19permute_cols_kernelPK15HIP_vector_typeIiLj4EEPKiPS0_iii.has_recursion, 0
	.set _Z19permute_cols_kernelPK15HIP_vector_typeIiLj4EEPKiPS0_iii.has_indirect_call, 0
	.section	.AMDGPU.csdata,"",@progbits
; Kernel info:
; codeLenInByte = 432
; TotalNumSgprs: 26
; NumVgprs: 6
; ScratchSize: 0
; MemoryBound: 0
; FloatMode: 240
; IeeeMode: 1
; LDSByteSize: 0 bytes/workgroup (compile time only)
; SGPRBlocks: 3
; VGPRBlocks: 1
; NumSGPRsForWavesPerEU: 26
; NumVGPRsForWavesPerEU: 6
; Occupancy: 10
; WaveLimiterHint : 1
; COMPUTE_PGM_RSRC2:SCRATCH_EN: 0
; COMPUTE_PGM_RSRC2:USER_SGPR: 6
; COMPUTE_PGM_RSRC2:TRAP_HANDLER: 0
; COMPUTE_PGM_RSRC2:TGID_X_EN: 1
; COMPUTE_PGM_RSRC2:TGID_Y_EN: 0
; COMPUTE_PGM_RSRC2:TGID_Z_EN: 0
; COMPUTE_PGM_RSRC2:TIDIG_COMP_CNT: 0
	.section	.AMDGPU.gpr_maximums,"",@progbits
	.set amdgpu.max_num_vgpr, 0
	.set amdgpu.max_num_agpr, 0
	.set amdgpu.max_num_sgpr, 0
	.section	.AMDGPU.csdata,"",@progbits
	.type	__hip_cuid_332f756778f50643,@object ; @__hip_cuid_332f756778f50643
	.section	.bss,"aw",@nobits
	.globl	__hip_cuid_332f756778f50643
__hip_cuid_332f756778f50643:
	.byte	0                               ; 0x0
	.size	__hip_cuid_332f756778f50643, 1

	.ident	"AMD clang version 22.0.0git (https://github.com/RadeonOpenCompute/llvm-project roc-7.2.4 26084 f58b06dce1f9c15707c5f808fd002e18c2accf7e)"
	.section	".note.GNU-stack","",@progbits
	.addrsig
	.addrsig_sym __hip_cuid_332f756778f50643
	.amdgpu_metadata
---
amdhsa.kernels:
  - .args:
      - .actual_access:  read_only
        .address_space:  global
        .offset:         0
        .size:           8
        .value_kind:     global_buffer
      - .actual_access:  read_only
        .address_space:  global
        .offset:         8
        .size:           8
        .value_kind:     global_buffer
      - .actual_access:  write_only
        .address_space:  global
        .offset:         16
        .size:           8
        .value_kind:     global_buffer
      - .offset:         24
        .size:           4
        .value_kind:     by_value
      - .offset:         28
        .size:           4
        .value_kind:     by_value
      - .offset:         32
        .size:           4
        .value_kind:     by_value
    .group_segment_fixed_size: 0
    .kernarg_segment_align: 8
    .kernarg_segment_size: 36
    .language:       OpenCL C
    .language_version:
      - 2
      - 0
    .max_flat_workgroup_size: 1024
    .name:           _Z19permute_cols_kernelPK15HIP_vector_typeIiLj4EEPKiPS0_iii
    .private_segment_fixed_size: 0
    .sgpr_count:     26
    .sgpr_spill_count: 0
    .symbol:         _Z19permute_cols_kernelPK15HIP_vector_typeIiLj4EEPKiPS0_iii.kd
    .uniform_work_group_size: 1
    .uses_dynamic_stack: false
    .vgpr_count:     6
    .vgpr_spill_count: 0
    .wavefront_size: 64
amdhsa.target:   amdgcn-amd-amdhsa--gfx906
amdhsa.version:
  - 1
  - 2
...

	.end_amdgpu_metadata
